;; amdgpu-corpus repo=ROCm/rocFFT kind=compiled arch=gfx950 opt=O3
	.text
	.amdgcn_target "amdgcn-amd-amdhsa--gfx950"
	.amdhsa_code_object_version 6
	.protected	fft_rtc_back_len1456_factors_13_4_7_2_2_wgs_182_tpt_182_halfLds_dp_op_CI_CI_unitstride_sbrr_C2R_dirReg ; -- Begin function fft_rtc_back_len1456_factors_13_4_7_2_2_wgs_182_tpt_182_halfLds_dp_op_CI_CI_unitstride_sbrr_C2R_dirReg
	.globl	fft_rtc_back_len1456_factors_13_4_7_2_2_wgs_182_tpt_182_halfLds_dp_op_CI_CI_unitstride_sbrr_C2R_dirReg
	.p2align	8
	.type	fft_rtc_back_len1456_factors_13_4_7_2_2_wgs_182_tpt_182_halfLds_dp_op_CI_CI_unitstride_sbrr_C2R_dirReg,@function
fft_rtc_back_len1456_factors_13_4_7_2_2_wgs_182_tpt_182_halfLds_dp_op_CI_CI_unitstride_sbrr_C2R_dirReg: ; @fft_rtc_back_len1456_factors_13_4_7_2_2_wgs_182_tpt_182_halfLds_dp_op_CI_CI_unitstride_sbrr_C2R_dirReg
; %bb.0:
	s_load_dwordx4 s[4:7], s[0:1], 0x58
	s_load_dwordx4 s[8:11], s[0:1], 0x0
	;; [unrolled: 1-line block ×3, first 2 shown]
	v_mul_u32_u24_e32 v1, 0x169, v0
	v_add_u32_sdwa v6, s2, v1 dst_sel:DWORD dst_unused:UNUSED_PAD src0_sel:DWORD src1_sel:WORD_1
	v_mov_b32_e32 v4, 0
	s_waitcnt lgkmcnt(0)
	v_cmp_lt_u64_e64 s[2:3], s[10:11], 2
	v_mov_b32_e32 v7, v4
	s_and_b64 vcc, exec, s[2:3]
	v_mov_b64_e32 v[2:3], 0
	s_cbranch_vccnz .LBB0_8
; %bb.1:
	s_load_dwordx2 s[2:3], s[0:1], 0x10
	s_add_u32 s16, s14, 8
	s_addc_u32 s17, s15, 0
	s_add_u32 s18, s12, 8
	s_addc_u32 s19, s13, 0
	s_waitcnt lgkmcnt(0)
	s_add_u32 s20, s2, 8
	v_mov_b64_e32 v[2:3], 0
	s_addc_u32 s21, s3, 0
	s_mov_b64 s[22:23], 1
	v_mov_b64_e32 v[80:81], v[2:3]
.LBB0_2:                                ; =>This Inner Loop Header: Depth=1
	s_load_dwordx2 s[24:25], s[20:21], 0x0
                                        ; implicit-def: $vgpr82_vgpr83
	s_waitcnt lgkmcnt(0)
	v_or_b32_e32 v5, s25, v7
	v_cmp_ne_u64_e32 vcc, 0, v[4:5]
	s_and_saveexec_b64 s[2:3], vcc
	s_xor_b64 s[26:27], exec, s[2:3]
	s_cbranch_execz .LBB0_4
; %bb.3:                                ;   in Loop: Header=BB0_2 Depth=1
	v_cvt_f32_u32_e32 v1, s24
	v_cvt_f32_u32_e32 v5, s25
	s_sub_u32 s2, 0, s24
	s_subb_u32 s3, 0, s25
	v_fmac_f32_e32 v1, 0x4f800000, v5
	v_rcp_f32_e32 v1, v1
	s_nop 0
	v_mul_f32_e32 v1, 0x5f7ffffc, v1
	v_mul_f32_e32 v5, 0x2f800000, v1
	v_trunc_f32_e32 v5, v5
	v_fmac_f32_e32 v1, 0xcf800000, v5
	v_cvt_u32_f32_e32 v5, v5
	v_cvt_u32_f32_e32 v1, v1
	v_mul_lo_u32 v8, s2, v5
	v_mul_hi_u32 v10, s2, v1
	v_mul_lo_u32 v9, s3, v1
	v_add_u32_e32 v10, v10, v8
	v_mul_lo_u32 v12, s2, v1
	v_add_u32_e32 v13, v10, v9
	v_mul_hi_u32 v8, v1, v12
	v_mul_hi_u32 v11, v1, v13
	v_mul_lo_u32 v10, v1, v13
	v_mov_b32_e32 v9, v4
	v_lshl_add_u64 v[8:9], v[8:9], 0, v[10:11]
	v_mul_hi_u32 v11, v5, v12
	v_mul_lo_u32 v12, v5, v12
	v_add_co_u32_e32 v8, vcc, v8, v12
	v_mul_hi_u32 v10, v5, v13
	s_nop 0
	v_addc_co_u32_e32 v8, vcc, v9, v11, vcc
	v_mov_b32_e32 v9, v4
	s_nop 0
	v_addc_co_u32_e32 v11, vcc, 0, v10, vcc
	v_mul_lo_u32 v10, v5, v13
	v_lshl_add_u64 v[8:9], v[8:9], 0, v[10:11]
	v_add_co_u32_e32 v1, vcc, v1, v8
	v_mul_lo_u32 v10, s2, v1
	s_nop 0
	v_addc_co_u32_e32 v5, vcc, v5, v9, vcc
	v_mul_lo_u32 v8, s2, v5
	v_mul_hi_u32 v9, s2, v1
	v_add_u32_e32 v8, v9, v8
	v_mul_lo_u32 v9, s3, v1
	v_add_u32_e32 v12, v8, v9
	v_mul_hi_u32 v14, v5, v10
	v_mul_lo_u32 v15, v5, v10
	v_mul_hi_u32 v9, v1, v12
	v_mul_lo_u32 v8, v1, v12
	v_mul_hi_u32 v10, v1, v10
	v_mov_b32_e32 v11, v4
	v_lshl_add_u64 v[8:9], v[10:11], 0, v[8:9]
	v_add_co_u32_e32 v8, vcc, v8, v15
	v_mul_hi_u32 v13, v5, v12
	s_nop 0
	v_addc_co_u32_e32 v8, vcc, v9, v14, vcc
	v_mul_lo_u32 v10, v5, v12
	s_nop 0
	v_addc_co_u32_e32 v11, vcc, 0, v13, vcc
	v_mov_b32_e32 v9, v4
	v_lshl_add_u64 v[8:9], v[8:9], 0, v[10:11]
	v_add_co_u32_e32 v1, vcc, v1, v8
	v_mul_hi_u32 v10, v6, v1
	s_nop 0
	v_addc_co_u32_e32 v5, vcc, v5, v9, vcc
	v_mad_u64_u32 v[8:9], s[2:3], v6, v5, 0
	v_mov_b32_e32 v11, v4
	v_lshl_add_u64 v[8:9], v[10:11], 0, v[8:9]
	v_mad_u64_u32 v[12:13], s[2:3], v7, v1, 0
	v_add_co_u32_e32 v1, vcc, v8, v12
	v_mad_u64_u32 v[10:11], s[2:3], v7, v5, 0
	s_nop 0
	v_addc_co_u32_e32 v8, vcc, v9, v13, vcc
	v_mov_b32_e32 v9, v4
	s_nop 0
	v_addc_co_u32_e32 v11, vcc, 0, v11, vcc
	v_lshl_add_u64 v[8:9], v[8:9], 0, v[10:11]
	v_mul_lo_u32 v1, s25, v8
	v_mul_lo_u32 v5, s24, v9
	v_mad_u64_u32 v[10:11], s[2:3], s24, v8, 0
	v_add3_u32 v1, v11, v5, v1
	v_sub_u32_e32 v5, v7, v1
	v_mov_b32_e32 v11, s25
	v_sub_co_u32_e32 v14, vcc, v6, v10
	v_lshl_add_u64 v[12:13], v[8:9], 0, 1
	s_nop 0
	v_subb_co_u32_e64 v5, s[2:3], v5, v11, vcc
	v_subrev_co_u32_e64 v10, s[2:3], s24, v14
	v_subb_co_u32_e32 v1, vcc, v7, v1, vcc
	s_nop 0
	v_subbrev_co_u32_e64 v5, s[2:3], 0, v5, s[2:3]
	v_cmp_le_u32_e64 s[2:3], s25, v5
	v_cmp_le_u32_e32 vcc, s25, v1
	s_nop 0
	v_cndmask_b32_e64 v11, 0, -1, s[2:3]
	v_cmp_le_u32_e64 s[2:3], s24, v10
	s_nop 1
	v_cndmask_b32_e64 v10, 0, -1, s[2:3]
	v_cmp_eq_u32_e64 s[2:3], s25, v5
	s_nop 1
	v_cndmask_b32_e64 v5, v11, v10, s[2:3]
	v_lshl_add_u64 v[10:11], v[8:9], 0, 2
	v_cmp_ne_u32_e64 s[2:3], 0, v5
	s_nop 1
	v_cndmask_b32_e64 v5, v13, v11, s[2:3]
	v_cndmask_b32_e64 v11, 0, -1, vcc
	v_cmp_le_u32_e32 vcc, s24, v14
	s_nop 1
	v_cndmask_b32_e64 v13, 0, -1, vcc
	v_cmp_eq_u32_e32 vcc, s25, v1
	s_nop 1
	v_cndmask_b32_e32 v1, v11, v13, vcc
	v_cmp_ne_u32_e32 vcc, 0, v1
	v_cndmask_b32_e64 v1, v12, v10, s[2:3]
	s_nop 0
	v_cndmask_b32_e32 v83, v9, v5, vcc
	v_cndmask_b32_e32 v82, v8, v1, vcc
.LBB0_4:                                ;   in Loop: Header=BB0_2 Depth=1
	s_andn2_saveexec_b64 s[2:3], s[26:27]
	s_cbranch_execz .LBB0_6
; %bb.5:                                ;   in Loop: Header=BB0_2 Depth=1
	v_cvt_f32_u32_e32 v1, s24
	s_sub_i32 s26, 0, s24
	v_mov_b32_e32 v83, v4
	v_rcp_iflag_f32_e32 v1, v1
	s_nop 0
	v_mul_f32_e32 v1, 0x4f7ffffe, v1
	v_cvt_u32_f32_e32 v1, v1
	v_mul_lo_u32 v5, s26, v1
	v_mul_hi_u32 v5, v1, v5
	v_add_u32_e32 v1, v1, v5
	v_mul_hi_u32 v1, v6, v1
	v_mul_lo_u32 v5, v1, s24
	v_sub_u32_e32 v5, v6, v5
	v_add_u32_e32 v8, 1, v1
	v_subrev_u32_e32 v9, s24, v5
	v_cmp_le_u32_e32 vcc, s24, v5
	s_nop 1
	v_cndmask_b32_e32 v5, v5, v9, vcc
	v_cndmask_b32_e32 v1, v1, v8, vcc
	v_add_u32_e32 v8, 1, v1
	v_cmp_le_u32_e32 vcc, s24, v5
	s_nop 1
	v_cndmask_b32_e32 v82, v1, v8, vcc
.LBB0_6:                                ;   in Loop: Header=BB0_2 Depth=1
	s_or_b64 exec, exec, s[2:3]
	v_mad_u64_u32 v[8:9], s[2:3], v82, s24, 0
	s_load_dwordx2 s[2:3], s[18:19], 0x0
	v_mul_lo_u32 v1, v83, s24
	v_mul_lo_u32 v5, v82, s25
	s_load_dwordx2 s[24:25], s[16:17], 0x0
	s_add_u32 s22, s22, 1
	v_add3_u32 v1, v9, v5, v1
	v_sub_co_u32_e32 v5, vcc, v6, v8
	s_addc_u32 s23, s23, 0
	s_nop 0
	v_subb_co_u32_e32 v1, vcc, v7, v1, vcc
	s_add_u32 s16, s16, 8
	s_waitcnt lgkmcnt(0)
	v_mul_lo_u32 v6, s2, v1
	v_mul_lo_u32 v7, s3, v5
	v_mad_u64_u32 v[2:3], s[2:3], s2, v5, v[2:3]
	s_addc_u32 s17, s17, 0
	v_add3_u32 v3, v7, v3, v6
	v_mul_lo_u32 v1, s24, v1
	v_mul_lo_u32 v6, s25, v5
	v_mad_u64_u32 v[80:81], s[2:3], s24, v5, v[80:81]
	s_add_u32 s18, s18, 8
	v_add3_u32 v81, v6, v81, v1
	s_addc_u32 s19, s19, 0
	v_mov_b64_e32 v[6:7], s[10:11]
	s_add_u32 s20, s20, 8
	v_cmp_ge_u64_e32 vcc, s[22:23], v[6:7]
	s_addc_u32 s21, s21, 0
	s_cbranch_vccnz .LBB0_9
; %bb.7:                                ;   in Loop: Header=BB0_2 Depth=1
	v_mov_b64_e32 v[6:7], v[82:83]
	s_branch .LBB0_2
.LBB0_8:
	v_mov_b64_e32 v[80:81], v[2:3]
	v_mov_b64_e32 v[82:83], v[6:7]
.LBB0_9:
	s_load_dwordx2 s[18:19], s[0:1], 0x28
	s_lshl_b64 s[16:17], s[10:11], 3
	s_add_u32 s2, s14, s16
	s_addc_u32 s3, s15, s17
                                        ; implicit-def: $vgpr84
                                        ; implicit-def: $vgpr252_vgpr253
	s_waitcnt lgkmcnt(0)
	v_cmp_gt_u64_e64 s[0:1], s[18:19], v[82:83]
	v_cmp_le_u64_e32 vcc, s[18:19], v[82:83]
	s_and_saveexec_b64 s[10:11], vcc
	s_xor_b64 s[10:11], exec, s[10:11]
; %bb.10:
	s_mov_b32 s14, 0x1681682
	v_mul_hi_u32 v1, v0, s14
	v_mul_u32_u24_e32 v1, 0xb6, v1
	v_sub_u32_e32 v84, v0, v1
	v_mov_b32_e32 v85, 0
	v_mov_b64_e32 v[252:253], v[84:85]
                                        ; implicit-def: $vgpr0
                                        ; implicit-def: $vgpr2_vgpr3
; %bb.11:
	s_or_saveexec_b64 s[10:11], s[10:11]
	s_load_dwordx2 s[2:3], s[2:3], 0x0
	s_xor_b64 exec, exec, s[10:11]
	s_cbranch_execz .LBB0_15
; %bb.12:
	s_add_u32 s12, s12, s16
	s_addc_u32 s13, s13, s17
	s_load_dwordx2 s[12:13], s[12:13], 0x0
	s_mov_b32 s14, 0x1681682
	v_mov_b32_e32 v85, 0
	v_mov_b32_e32 v35, v85
	s_waitcnt lgkmcnt(0)
	v_mul_lo_u32 v1, s13, v82
	v_mul_lo_u32 v6, s12, v83
	v_mad_u64_u32 v[4:5], s[12:13], s12, v82, 0
	v_add3_u32 v5, v5, v6, v1
	v_mul_hi_u32 v1, v0, s14
	v_mul_u32_u24_e32 v1, 0xb6, v1
	v_sub_u32_e32 v84, v0, v1
	v_lshl_add_u64 v[0:1], v[4:5], 4, s[4:5]
	v_lshl_add_u64 v[0:1], v[2:3], 4, v[0:1]
	v_lshlrev_b32_e32 v34, 4, v84
	v_lshl_add_u64 v[26:27], v[0:1], 0, v[34:35]
	s_movk_i32 s4, 0x1000
	v_add_co_u32_e32 v18, vcc, s4, v26
	s_movk_i32 s4, 0x2000
	s_nop 0
	v_addc_co_u32_e32 v19, vcc, 0, v27, vcc
	v_add_co_u32_e32 v28, vcc, s4, v26
	s_movk_i32 s4, 0x3000
	s_nop 0
	v_addc_co_u32_e32 v29, vcc, 0, v27, vcc
	v_add_co_u32_e32 v30, vcc, s4, v26
	global_load_dwordx4 v[2:5], v[26:27], off
	global_load_dwordx4 v[6:9], v[26:27], off offset:2912
	v_addc_co_u32_e32 v31, vcc, 0, v27, vcc
	v_add_co_u32_e32 v36, vcc, 0x4000, v26
	global_load_dwordx4 v[10:13], v[18:19], off offset:1728
	global_load_dwordx4 v[14:17], v[28:29], off offset:544
	v_addc_co_u32_e32 v37, vcc, 0, v27, vcc
	global_load_dwordx4 v[18:21], v[28:29], off offset:3456
	global_load_dwordx4 v[22:25], v[30:31], off offset:2272
	s_nop 0
	global_load_dwordx4 v[26:29], v[36:37], off offset:1088
	global_load_dwordx4 v[30:33], v[36:37], off offset:4000
	s_movk_i32 s4, 0xb5
	v_cmp_eq_u32_e32 vcc, s4, v84
	v_add_u32_e32 v34, 0, v34
	v_mov_b64_e32 v[252:253], v[84:85]
	s_waitcnt vmcnt(7)
	ds_write_b128 v34, v[2:5]
	s_waitcnt vmcnt(6)
	ds_write_b128 v34, v[6:9] offset:2912
	s_waitcnt vmcnt(5)
	ds_write_b128 v34, v[10:13] offset:5824
	s_waitcnt vmcnt(4)
	ds_write_b128 v34, v[14:17] offset:8736
	s_waitcnt vmcnt(3)
	ds_write_b128 v34, v[18:21] offset:11648
	s_waitcnt vmcnt(2)
	ds_write_b128 v34, v[22:25] offset:14560
	s_waitcnt vmcnt(1)
	ds_write_b128 v34, v[26:29] offset:17472
	s_waitcnt vmcnt(0)
	ds_write_b128 v34, v[30:33] offset:20384
	s_and_saveexec_b64 s[4:5], vcc
	s_cbranch_execz .LBB0_14
; %bb.13:
	v_add_co_u32_e32 v0, vcc, 0x5000, v0
	v_mov_b32_e32 v84, 0xb5
	s_nop 0
	v_addc_co_u32_e32 v1, vcc, 0, v1, vcc
	global_load_dwordx4 v[0:3], v[0:1], off offset:2816
	v_mov_b64_e32 v[252:253], 0xb5
	s_waitcnt vmcnt(0)
	ds_write_b128 v85, v[0:3] offset:23296
.LBB0_14:
	s_or_b64 exec, exec, s[4:5]
.LBB0_15:
	s_or_b64 exec, exec, s[10:11]
	v_lshlrev_b32_e32 v0, 4, v84
	v_add_u32_e32 v248, 0, v0
	s_waitcnt lgkmcnt(0)
	s_barrier
	v_sub_u32_e32 v16, 0, v0
	ds_read_b64 v[0:1], v248
	ds_read_b64 v[2:3], v16 offset:23296
	s_add_u32 s4, s8, 0x5a30
	s_addc_u32 s5, s9, 0
	v_cmp_ne_u32_e32 vcc, 0, v84
	s_waitcnt lgkmcnt(0)
	v_add_f64 v[12:13], v[0:1], v[2:3]
	v_add_f64 v[14:15], v[0:1], -v[2:3]
	s_and_saveexec_b64 s[10:11], vcc
	s_xor_b64 s[10:11], exec, s[10:11]
	s_cbranch_execz .LBB0_17
; %bb.16:
	v_lshl_add_u64 v[4:5], v[252:253], 4, s[4:5]
	global_load_dwordx4 v[4:7], v[4:5], off
	ds_read_b64 v[8:9], v16 offset:23304
	ds_read_b64 v[10:11], v248 offset:8
	v_add_f64 v[12:13], v[0:1], v[2:3]
	v_add_f64 v[18:19], v[0:1], -v[2:3]
	s_waitcnt lgkmcnt(0)
	v_add_f64 v[20:21], v[8:9], v[10:11]
	v_add_f64 v[2:3], v[10:11], -v[8:9]
	s_waitcnt vmcnt(0)
	v_fma_f64 v[14:15], v[20:21], v[6:7], v[2:3]
	v_fma_f64 v[0:1], -v[18:19], v[6:7], v[12:13]
	v_fma_f64 v[2:3], v[20:21], v[6:7], -v[2:3]
	v_fma_f64 v[8:9], v[18:19], v[6:7], v[12:13]
	v_fmac_f64_e32 v[0:1], v[20:21], v[4:5]
	v_fmac_f64_e32 v[2:3], v[18:19], v[4:5]
	v_fma_f64 v[12:13], -v[20:21], v[4:5], v[8:9]
	v_fmac_f64_e32 v[14:15], v[18:19], v[4:5]
	ds_write_b128 v16, v[0:3] offset:23296
.LBB0_17:
	s_andn2_saveexec_b64 s[10:11], s[10:11]
	s_cbranch_execz .LBB0_19
; %bb.18:
	v_mov_b32_e32 v4, 0
	ds_read_b128 v[0:3], v4 offset:11648
	s_waitcnt lgkmcnt(0)
	v_add_f64 v[0:1], v[0:1], v[0:1]
	v_mul_f64 v[2:3], v[2:3], -2.0
	ds_write_b128 v4, v[0:3] offset:11648
.LBB0_19:
	s_or_b64 exec, exec, s[10:11]
	v_mov_b32_e32 v85, 0
	v_lshl_add_u64 v[0:1], v[84:85], 4, s[4:5]
	global_load_dwordx4 v[4:7], v[0:1], off offset:2912
	s_movk_i32 s4, 0x1000
	v_add_co_u32_e32 v2, vcc, s4, v0
	s_movk_i32 s4, 0x2000
	s_nop 0
	v_addc_co_u32_e32 v3, vcc, 0, v1, vcc
	global_load_dwordx4 v[8:11], v[2:3], off offset:1728
	v_add_co_u32_e32 v0, vcc, s4, v0
	ds_write_b128 v248, v[12:15]
	s_nop 0
	v_addc_co_u32_e32 v1, vcc, 0, v1, vcc
	global_load_dwordx4 v[0:3], v[0:1], off offset:544
	ds_read_b128 v[12:15], v248 offset:2912
	ds_read_b128 v[18:21], v16 offset:20384
	s_mov_b32 s16, 0x4267c47c
	s_mov_b32 s4, 0xe00740e9
	;; [unrolled: 1-line block ×4, first 2 shown]
	s_waitcnt lgkmcnt(0)
	v_add_f64 v[22:23], v[12:13], v[18:19]
	v_add_f64 v[24:25], v[20:21], v[14:15]
	v_add_f64 v[26:27], v[12:13], -v[18:19]
	v_add_f64 v[12:13], v[14:15], -v[20:21]
	s_mov_b32 s5, 0x3fec55a7
	s_mov_b32 s10, 0x1ea71119
	;; [unrolled: 1-line block ×32, first 2 shown]
	s_movk_i32 s28, 0x70
	v_cmp_gt_u32_e32 vcc, s28, v84
	s_waitcnt vmcnt(2)
	v_fma_f64 v[28:29], v[26:27], v[6:7], v[22:23]
	v_fma_f64 v[14:15], v[24:25], v[6:7], v[12:13]
	v_fma_f64 v[18:19], -v[26:27], v[6:7], v[22:23]
	v_fma_f64 v[20:21], v[24:25], v[6:7], -v[12:13]
	v_fma_f64 v[12:13], -v[24:25], v[4:5], v[28:29]
	v_fmac_f64_e32 v[14:15], v[26:27], v[4:5]
	v_fmac_f64_e32 v[18:19], v[24:25], v[4:5]
	;; [unrolled: 1-line block ×3, first 2 shown]
	ds_write_b128 v248, v[12:15] offset:2912
	ds_write_b128 v16, v[18:21] offset:20384
	ds_read_b128 v[4:7], v248 offset:5824
	ds_read_b128 v[12:15], v16 offset:17472
	s_waitcnt lgkmcnt(0)
	v_add_f64 v[18:19], v[4:5], v[12:13]
	v_add_f64 v[20:21], v[14:15], v[6:7]
	v_add_f64 v[22:23], v[4:5], -v[12:13]
	v_add_f64 v[4:5], v[6:7], -v[14:15]
	s_waitcnt vmcnt(1)
	v_fma_f64 v[24:25], v[22:23], v[10:11], v[18:19]
	v_fma_f64 v[6:7], v[20:21], v[10:11], v[4:5]
	v_fma_f64 v[12:13], -v[22:23], v[10:11], v[18:19]
	v_fma_f64 v[14:15], v[20:21], v[10:11], -v[4:5]
	v_fma_f64 v[4:5], -v[20:21], v[8:9], v[24:25]
	v_fmac_f64_e32 v[6:7], v[22:23], v[8:9]
	v_fmac_f64_e32 v[12:13], v[20:21], v[8:9]
	;; [unrolled: 1-line block ×3, first 2 shown]
	ds_write_b128 v248, v[4:7] offset:5824
	ds_write_b128 v16, v[12:15] offset:17472
	ds_read_b128 v[4:7], v248 offset:8736
	ds_read_b128 v[8:11], v16 offset:14560
	s_waitcnt lgkmcnt(0)
	v_add_f64 v[12:13], v[4:5], v[8:9]
	v_add_f64 v[14:15], v[10:11], v[6:7]
	v_add_f64 v[18:19], v[4:5], -v[8:9]
	v_add_f64 v[8:9], v[6:7], -v[10:11]
	s_waitcnt vmcnt(0)
	v_fma_f64 v[10:11], v[18:19], v[2:3], v[12:13]
	v_fma_f64 v[4:5], v[14:15], v[2:3], v[8:9]
	v_fma_f64 v[6:7], -v[18:19], v[2:3], v[12:13]
	v_fma_f64 v[8:9], v[14:15], v[2:3], -v[8:9]
	v_fma_f64 v[2:3], -v[14:15], v[0:1], v[10:11]
	v_fmac_f64_e32 v[4:5], v[18:19], v[0:1]
	v_fmac_f64_e32 v[6:7], v[14:15], v[0:1]
	;; [unrolled: 1-line block ×3, first 2 shown]
	ds_write_b128 v248, v[2:5] offset:8736
	ds_write_b128 v16, v[6:9] offset:14560
	s_waitcnt lgkmcnt(0)
	s_barrier
	s_barrier
	ds_read_b128 v[32:35], v248
	ds_read_b128 v[36:39], v248 offset:1792
	ds_read_b128 v[20:23], v248 offset:21504
	;; [unrolled: 1-line block ×8, first 2 shown]
	s_waitcnt lgkmcnt(6)
	v_add_f64 v[72:73], v[38:39], -v[22:23]
	v_add_f64 v[76:77], v[36:37], v[20:21]
	v_add_f64 v[158:159], v[38:39], v[22:23]
	s_waitcnt lgkmcnt(3)
	v_add_f64 v[74:75], v[42:43], -v[26:27]
	v_mul_f64 v[86:87], v[72:73], s[16:17]
	ds_read_b128 v[56:59], v248 offset:8960
	ds_read_b128 v[60:63], v248 offset:14336
	v_add_f64 v[78:79], v[36:37], -v[20:21]
	v_add_f64 v[110:111], v[40:41], v[24:25]
	v_add_f64 v[162:163], v[42:43], v[26:27]
	s_waitcnt lgkmcnt(4)
	v_add_f64 v[190:191], v[46:47], -v[30:31]
	v_mul_f64 v[92:93], v[158:159], s[4:5]
	v_mul_f64 v[88:89], v[74:75], s[12:13]
	v_fma_f64 v[0:1], v[76:77], s[4:5], -v[86:87]
	v_add_f64 v[112:113], v[40:41], -v[24:25]
	v_add_f64 v[114:115], v[44:45], v[28:29]
	v_mul_f64 v[94:95], v[162:163], s[10:11]
	v_mul_f64 v[90:91], v[190:191], s[18:19]
	v_fma_f64 v[2:3], s[16:17], v[78:79], v[92:93]
	v_fma_f64 v[4:5], v[110:111], s[10:11], -v[88:89]
	v_add_f64 v[0:1], v[32:33], v[0:1]
	v_add_f64 v[186:187], v[46:47], v[30:31]
	ds_read_b128 v[64:67], v248 offset:10752
	ds_read_b128 v[68:71], v248 offset:12544
	v_fma_f64 v[6:7], s[12:13], v[112:113], v[94:95]
	v_add_f64 v[2:3], v[34:35], v[2:3]
	v_add_f64 v[0:1], v[4:5], v[0:1]
	v_fma_f64 v[4:5], v[114:115], s[14:15], -v[90:91]
	v_add_f64 v[122:123], v[44:45], -v[28:29]
	v_mul_f64 v[98:99], v[186:187], s[14:15]
	s_waitcnt lgkmcnt(4)
	v_add_f64 v[206:207], v[54:55], -v[50:51]
	v_add_f64 v[2:3], v[6:7], v[2:3]
	v_add_f64 v[0:1], v[4:5], v[0:1]
	v_fma_f64 v[4:5], s[18:19], v[122:123], v[98:99]
	v_add_f64 v[132:133], v[52:53], v[48:49]
	v_mul_f64 v[100:101], v[206:207], s[26:27]
	v_add_f64 v[202:203], v[54:55], v[50:51]
	v_add_f64 v[2:3], v[4:5], v[2:3]
	v_fma_f64 v[4:5], v[132:133], s[24:25], -v[100:101]
	v_add_f64 v[138:139], v[52:53], -v[48:49]
	v_mul_f64 v[102:103], v[202:203], s[24:25]
	s_waitcnt lgkmcnt(2)
	v_add_f64 v[218:219], v[58:59], -v[62:63]
	v_add_f64 v[0:1], v[4:5], v[0:1]
	v_fma_f64 v[4:5], s[26:27], v[138:139], v[102:103]
	v_add_f64 v[142:143], v[56:57], v[60:61]
	v_mul_f64 v[104:105], v[218:219], s[22:23]
	v_add_f64 v[214:215], v[58:59], v[62:63]
	v_add_f64 v[2:3], v[4:5], v[2:3]
	v_fma_f64 v[4:5], v[142:143], s[20:21], -v[104:105]
	v_add_f64 v[148:149], v[56:57], -v[60:61]
	v_mul_f64 v[106:107], v[214:215], s[20:21]
	s_waitcnt lgkmcnt(0)
	v_add_f64 v[224:225], v[66:67], -v[70:71]
	v_add_f64 v[0:1], v[4:5], v[0:1]
	v_fma_f64 v[4:5], s[22:23], v[148:149], v[106:107]
	v_add_f64 v[150:151], v[64:65], v[68:69]
	v_mul_f64 v[108:109], v[224:225], s[30:31]
	v_add_f64 v[222:223], v[66:67], v[70:71]
	v_add_f64 v[2:3], v[4:5], v[2:3]
	v_fma_f64 v[4:5], v[150:151], s[34:35], -v[108:109]
	v_add_f64 v[154:155], v[64:65], -v[68:69]
	v_mul_f64 v[116:117], v[222:223], s[34:35]
	v_add_f64 v[0:1], v[4:5], v[0:1]
	v_fma_f64 v[4:5], s[30:31], v[154:155], v[116:117]
	v_mul_f64 v[118:119], v[72:73], s[12:13]
	v_add_f64 v[2:3], v[4:5], v[2:3]
	v_fma_f64 v[4:5], v[76:77], s[10:11], -v[118:119]
	v_mul_f64 v[120:121], v[74:75], s[26:27]
	v_add_f64 v[4:5], v[32:33], v[4:5]
	v_fma_f64 v[6:7], v[110:111], s[24:25], -v[120:121]
	v_mul_f64 v[126:127], v[158:159], s[10:11]
	v_add_f64 v[4:5], v[6:7], v[4:5]
	v_fma_f64 v[6:7], s[12:13], v[78:79], v[126:127]
	v_mul_f64 v[130:131], v[162:163], s[24:25]
	v_add_f64 v[6:7], v[34:35], v[6:7]
	v_fma_f64 v[8:9], s[26:27], v[112:113], v[130:131]
	v_mul_f64 v[124:125], v[190:191], s[30:31]
	v_add_f64 v[6:7], v[8:9], v[6:7]
	v_fma_f64 v[8:9], v[114:115], s[34:35], -v[124:125]
	v_mul_f64 v[134:135], v[186:187], s[34:35]
	v_add_f64 v[4:5], v[8:9], v[4:5]
	v_fma_f64 v[8:9], s[30:31], v[122:123], v[134:135]
	v_mul_f64 v[128:129], v[206:207], s[40:41]
	v_add_f64 v[6:7], v[8:9], v[6:7]
	v_fma_f64 v[8:9], v[132:133], s[20:21], -v[128:129]
	v_mul_f64 v[140:141], v[202:203], s[20:21]
	v_add_f64 v[4:5], v[8:9], v[4:5]
	v_fma_f64 v[8:9], s[40:41], v[138:139], v[140:141]
	v_mul_f64 v[136:137], v[218:219], s[38:39]
	v_add_f64 v[6:7], v[8:9], v[6:7]
	v_fma_f64 v[8:9], v[142:143], s[14:15], -v[136:137]
	v_mul_f64 v[146:147], v[214:215], s[14:15]
	v_add_f64 v[4:5], v[8:9], v[4:5]
	v_fma_f64 v[8:9], s[38:39], v[148:149], v[146:147]
	v_mul_f64 v[144:145], v[224:225], s[36:37]
	v_add_f64 v[6:7], v[8:9], v[6:7]
	v_fma_f64 v[8:9], v[150:151], s[4:5], -v[144:145]
	v_mul_f64 v[152:153], v[222:223], s[4:5]
	v_add_f64 v[4:5], v[8:9], v[4:5]
	v_fma_f64 v[8:9], s[36:37], v[154:155], v[152:153]
	v_mul_f64 v[156:157], v[72:73], s[18:19]
	v_add_f64 v[6:7], v[8:9], v[6:7]
	v_fma_f64 v[8:9], v[76:77], s[14:15], -v[156:157]
	v_mul_f64 v[160:161], v[74:75], s[30:31]
	v_add_f64 v[8:9], v[32:33], v[8:9]
	v_fma_f64 v[10:11], v[110:111], s[34:35], -v[160:161]
	v_mul_f64 v[166:167], v[158:159], s[14:15]
	v_add_f64 v[8:9], v[10:11], v[8:9]
	v_fma_f64 v[10:11], s[18:19], v[78:79], v[166:167]
	v_mul_f64 v[170:171], v[162:163], s[34:35]
	v_add_f64 v[10:11], v[34:35], v[10:11]
	v_fma_f64 v[12:13], s[30:31], v[112:113], v[170:171]
	v_mul_f64 v[164:165], v[190:191], s[42:43]
	v_add_f64 v[10:11], v[12:13], v[10:11]
	v_fma_f64 v[12:13], v[114:115], s[24:25], -v[164:165]
	v_mul_f64 v[174:175], v[186:187], s[24:25]
	v_add_f64 v[8:9], v[12:13], v[8:9]
	v_fma_f64 v[12:13], s[42:43], v[122:123], v[174:175]
	v_mul_f64 v[168:169], v[206:207], s[36:37]
	v_add_f64 v[10:11], v[12:13], v[10:11]
	v_fma_f64 v[12:13], v[132:133], s[4:5], -v[168:169]
	v_mul_f64 v[178:179], v[202:203], s[4:5]
	v_add_f64 v[8:9], v[12:13], v[8:9]
	v_fma_f64 v[12:13], s[36:37], v[138:139], v[178:179]
	v_mul_f64 v[172:173], v[218:219], s[12:13]
	v_add_f64 v[10:11], v[12:13], v[10:11]
	v_fma_f64 v[12:13], v[142:143], s[10:11], -v[172:173]
	v_mul_f64 v[180:181], v[214:215], s[10:11]
	v_add_f64 v[8:9], v[12:13], v[8:9]
	v_fma_f64 v[12:13], s[12:13], v[148:149], v[180:181]
	v_mul_f64 v[176:177], v[224:225], s[22:23]
	v_add_f64 v[10:11], v[12:13], v[10:11]
	v_fma_f64 v[12:13], v[150:151], s[20:21], -v[176:177]
	;; [unrolled: 36-line block ×3, first 2 shown]
	v_mul_f64 v[216:217], v[222:223], s[10:11]
	v_add_f64 v[12:13], v[16:17], v[12:13]
	v_fma_f64 v[16:17], s[46:47], v[154:155], v[216:217]
	v_mul_f64 v[220:221], v[72:73], s[22:23]
	v_add_f64 v[14:15], v[16:17], v[14:15]
	v_fma_f64 v[16:17], v[76:77], s[20:21], -v[220:221]
	v_mul_f64 v[226:227], v[74:75], s[38:39]
	v_add_f64 v[16:17], v[32:33], v[16:17]
	v_fma_f64 v[18:19], v[110:111], s[14:15], -v[226:227]
	v_mul_f64 v[236:237], v[158:159], s[20:21]
	v_add_f64 v[16:17], v[18:19], v[16:17]
	v_fma_f64 v[18:19], s[22:23], v[78:79], v[236:237]
	v_mul_f64 v[238:239], v[162:163], s[14:15]
	v_add_f64 v[18:19], v[34:35], v[18:19]
	v_fma_f64 v[228:229], s[38:39], v[112:113], v[238:239]
	v_add_f64 v[18:19], v[228:229], v[18:19]
	v_mul_f64 v[228:229], v[190:191], s[12:13]
	v_fma_f64 v[230:231], v[114:115], s[10:11], -v[228:229]
	v_mul_f64 v[240:241], v[186:187], s[10:11]
	v_add_f64 v[16:17], v[230:231], v[16:17]
	v_fma_f64 v[230:231], s[12:13], v[122:123], v[240:241]
	v_add_f64 v[18:19], v[230:231], v[18:19]
	v_mul_f64 v[230:231], v[206:207], s[44:45]
	v_fma_f64 v[232:233], v[132:133], s[34:35], -v[230:231]
	;; [unrolled: 6-line block ×4, first 2 shown]
	v_add_f64 v[16:17], v[246:247], v[16:17]
	v_mul_f64 v[246:247], v[222:223], s[24:25]
	v_fma_f64 v[250:251], s[26:27], v[154:155], v[246:247]
	v_add_f64 v[18:19], v[250:251], v[18:19]
	s_barrier
	s_and_saveexec_b64 s[28:29], vcc
	s_cbranch_execz .LBB0_21
; %bb.20:
	v_mul_f64 v[254:255], v[78:79], s[30:31]
	v_accvgpr_write_b32 a2, v86
	v_mul_f64 v[250:251], v[112:113], s[36:37]
	v_accvgpr_write_b32 a0, v252
	v_accvgpr_write_b32 a3, v87
	v_fma_f64 v[86:87], s[34:35], v[158:159], v[254:255]
	v_accvgpr_write_b32 a1, v253
	v_fma_f64 v[252:253], s[4:5], v[162:163], v[250:251]
	v_add_f64 v[86:87], v[34:35], v[86:87]
	v_add_f64 v[86:87], v[252:253], v[86:87]
	v_mul_f64 v[252:253], v[122:123], s[22:23]
	v_accvgpr_write_b32 a4, v88
	v_accvgpr_write_b32 a5, v89
	v_fma_f64 v[88:89], s[20:21], v[186:187], v[252:253]
	v_add_f64 v[86:87], v[88:89], v[86:87]
	v_mul_f64 v[88:89], v[138:139], s[46:47]
	v_accvgpr_write_b32 a6, v90
	v_accvgpr_write_b32 a7, v91
	v_fma_f64 v[90:91], s[10:11], v[202:203], v[88:89]
	v_add_f64 v[86:87], v[90:91], v[86:87]
	v_mul_f64 v[90:91], v[148:149], s[26:27]
	v_accvgpr_write_b32 a8, v92
	v_accvgpr_write_b32 a10, v94
	;; [unrolled: 1-line block ×3, first 2 shown]
	v_fma_f64 v[92:93], s[24:25], v[214:215], v[90:91]
	v_accvgpr_write_b32 a11, v95
	v_mul_f64 v[94:95], v[72:73], s[30:31]
	v_add_f64 v[86:87], v[92:93], v[86:87]
	v_mul_f64 v[92:93], v[74:75], s[36:37]
	v_fma_f64 v[72:73], v[76:77], s[34:35], -v[94:95]
	v_add_f64 v[72:73], v[32:33], v[72:73]
	v_fma_f64 v[74:75], v[110:111], s[4:5], -v[92:93]
	v_mul_f64 v[96:97], v[190:191], s[22:23]
	v_add_f64 v[72:73], v[74:75], v[72:73]
	v_fma_f64 v[74:75], v[114:115], s[20:21], -v[96:97]
	v_mul_f64 v[206:207], v[206:207], s[46:47]
	;; [unrolled: 3-line block ×4, first 2 shown]
	v_fma_f64 v[88:89], v[202:203], s[10:11], -v[88:89]
	v_fma_f64 v[202:203], v[158:159], s[34:35], -v[254:255]
	v_add_f64 v[72:73], v[74:75], v[72:73]
	v_fma_f64 v[74:75], s[14:15], v[222:223], v[190:191]
	v_fma_f64 v[222:223], v[222:223], s[14:15], -v[190:191]
	v_fma_f64 v[190:191], v[186:187], s[20:21], -v[252:253]
	;; [unrolled: 1-line block ×3, first 2 shown]
	v_add_f64 v[202:203], v[34:35], v[202:203]
	v_add_f64 v[202:203], v[186:187], v[202:203]
	;; [unrolled: 1-line block ×3, first 2 shown]
	v_fmac_f64_e32 v[94:95], s[34:35], v[76:77]
	v_fma_f64 v[90:91], v[214:215], s[24:25], -v[90:91]
	v_add_f64 v[88:89], v[88:89], v[202:203]
	v_fmac_f64_e32 v[92:93], s[4:5], v[110:111]
	v_add_f64 v[94:95], v[32:33], v[94:95]
	v_add_f64 v[88:89], v[90:91], v[88:89]
	;; [unrolled: 1-line block ×3, first 2 shown]
	v_fmac_f64_e32 v[96:97], s[20:21], v[114:115]
	v_add_f64 v[74:75], v[74:75], v[86:87]
	v_mul_f64 v[86:87], v[224:225], s[38:39]
	v_mul_f64 v[158:159], v[78:79], s[16:17]
	;; [unrolled: 1-line block ×4, first 2 shown]
	v_add_f64 v[92:93], v[96:97], v[92:93]
	v_mul_f64 v[96:97], v[78:79], s[26:27]
	v_mul_f64 v[250:251], v[78:79], s[22:23]
	v_add_f64 v[78:79], v[222:223], v[88:89]
	v_mul_f64 v[222:223], v[122:123], s[12:13]
	v_fma_f64 v[224:225], v[150:151], s[14:15], -v[86:87]
	v_fmac_f64_e32 v[206:207], s[10:11], v[132:133]
	v_add_f64 v[222:223], v[240:241], -v[222:223]
	v_mul_f64 v[240:241], v[112:113], s[38:39]
	v_add_f64 v[236:237], v[236:237], -v[250:251]
	v_add_f64 v[72:73], v[224:225], v[72:73]
	v_mul_f64 v[162:163], v[76:77], s[4:5]
	v_mul_f64 v[186:187], v[76:77], s[10:11]
	;; [unrolled: 1-line block ×5, first 2 shown]
	v_add_f64 v[76:77], v[206:207], v[92:93]
	v_fmac_f64_e32 v[218:219], s[24:25], v[142:143]
	v_add_f64 v[238:239], v[238:239], -v[240:241]
	v_add_f64 v[236:237], v[34:35], v[236:237]
	v_add_f64 v[76:77], v[218:219], v[76:77]
	v_mul_f64 v[218:219], v[138:139], s[44:45]
	v_add_f64 v[236:237], v[238:239], v[236:237]
	v_mul_f64 v[206:207], v[148:149], s[36:37]
	v_add_f64 v[218:219], v[242:243], -v[218:219]
	v_add_f64 v[222:223], v[222:223], v[236:237]
	v_mul_f64 v[92:93], v[112:113], s[12:13]
	v_fmac_f64_e32 v[86:87], s[14:15], v[150:151]
	v_add_f64 v[206:207], v[244:245], -v[206:207]
	v_mul_f64 v[240:241], v[112:113], s[26:27]
	v_mul_f64 v[238:239], v[112:113], s[30:31]
	;; [unrolled: 1-line block ×3, first 2 shown]
	v_add_f64 v[112:113], v[218:219], v[222:223]
	v_mul_f64 v[222:223], v[142:143], s[4:5]
	v_mul_f64 v[202:203], v[110:111], s[10:11]
	v_add_f64 v[76:77], v[86:87], v[76:77]
	v_mul_f64 v[86:87], v[110:111], s[24:25]
	v_mul_f64 v[242:243], v[110:111], s[34:35]
	;; [unrolled: 1-line block ×4, first 2 shown]
	v_add_f64 v[222:223], v[222:223], v[232:233]
	v_mul_f64 v[232:233], v[132:133], s[34:35]
	v_add_f64 v[220:221], v[224:225], v[220:221]
	v_add_f64 v[230:231], v[232:233], v[230:231]
	v_mul_f64 v[232:233], v[114:115], s[10:11]
	v_add_f64 v[110:111], v[110:111], v[226:227]
	v_add_f64 v[220:221], v[32:33], v[220:221]
	;; [unrolled: 1-line block ×6, first 2 shown]
	v_mul_f64 v[206:207], v[150:151], s[24:25]
	v_add_f64 v[110:111], v[230:231], v[110:111]
	v_add_f64 v[206:207], v[206:207], v[234:235]
	;; [unrolled: 1-line block ×4, first 2 shown]
	v_mul_f64 v[206:207], v[154:155], s[46:47]
	v_add_f64 v[96:97], v[198:199], -v[96:97]
	v_mul_f64 v[232:233], v[122:123], s[18:19]
	v_mul_f64 v[224:225], v[122:123], s[30:31]
	;; [unrolled: 1-line block ×4, first 2 shown]
	v_add_f64 v[206:207], v[216:217], -v[206:207]
	v_mul_f64 v[216:217], v[148:149], s[44:45]
	v_add_f64 v[204:205], v[204:205], -v[244:245]
	v_add_f64 v[96:97], v[34:35], v[96:97]
	v_add_f64 v[212:213], v[212:213], -v[216:217]
	v_mul_f64 v[216:217], v[138:139], s[18:19]
	v_add_f64 v[122:123], v[208:209], -v[122:123]
	v_add_f64 v[96:97], v[204:205], v[96:97]
	v_mul_f64 v[88:89], v[154:155], s[26:27]
	v_add_f64 v[210:211], v[210:211], -v[216:217]
	v_add_f64 v[96:97], v[122:123], v[96:97]
	v_add_f64 v[88:89], v[246:247], -v[88:89]
	v_add_f64 v[96:97], v[210:211], v[96:97]
	v_mul_f64 v[230:231], v[132:133], s[24:25]
	v_add_f64 v[112:113], v[88:89], v[112:113]
	v_mul_f64 v[88:89], v[132:133], s[20:21]
	v_mul_f64 v[208:209], v[132:133], s[4:5]
	;; [unrolled: 1-line block ×6, first 2 shown]
	v_add_f64 v[96:97], v[212:213], v[96:97]
	v_mul_f64 v[148:149], v[150:151], s[10:11]
	v_add_f64 v[94:95], v[94:95], v[184:185]
	v_mul_f64 v[218:219], v[114:115], s[14:15]
	v_mul_f64 v[226:227], v[114:115], s[34:35]
	;; [unrolled: 1-line block ×4, first 2 shown]
	v_add_f64 v[148:149], v[148:149], v[200:201]
	v_mul_f64 v[200:201], v[150:151], s[34:35]
	v_add_f64 v[132:133], v[132:133], v[194:195]
	v_mul_f64 v[194:195], v[150:151], s[4:5]
	v_mul_f64 v[212:213], v[150:151], s[20:21]
	v_add_f64 v[150:151], v[206:207], v[96:97]
	v_add_f64 v[96:97], v[236:237], v[188:189]
	;; [unrolled: 1-line block ×3, first 2 shown]
	v_mul_f64 v[222:223], v[138:139], s[26:27]
	v_mul_f64 v[216:217], v[138:139], s[40:41]
	;; [unrolled: 1-line block ×3, first 2 shown]
	v_add_f64 v[114:115], v[114:115], v[192:193]
	v_add_f64 v[94:95], v[96:97], v[94:95]
	v_add_f64 v[90:91], v[166:167], -v[90:91]
	v_add_f64 v[94:95], v[114:115], v[94:95]
	v_add_f64 v[114:115], v[178:179], -v[138:139]
	v_add_f64 v[138:139], v[170:171], -v[238:239]
	v_add_f64 v[90:91], v[34:35], v[90:91]
	v_mul_f64 v[234:235], v[142:143], s[20:21]
	v_mul_f64 v[204:205], v[142:143], s[14:15]
	;; [unrolled: 1-line block ×4, first 2 shown]
	v_add_f64 v[94:95], v[132:133], v[94:95]
	v_add_f64 v[132:133], v[174:175], -v[228:229]
	v_add_f64 v[90:91], v[138:139], v[90:91]
	v_add_f64 v[138:139], v[214:215], v[156:157]
	;; [unrolled: 1-line block ×6, first 2 shown]
	v_mul_f64 v[196:197], v[154:155], s[30:31]
	v_mul_f64 v[192:193], v[154:155], s[36:37]
	;; [unrolled: 1-line block ×3, first 2 shown]
	v_add_f64 v[94:95], v[142:143], v[94:95]
	v_add_f64 v[96:97], v[180:181], -v[244:245]
	v_add_f64 v[90:91], v[114:115], v[90:91]
	v_add_f64 v[114:115], v[220:221], v[164:165]
	;; [unrolled: 1-line block ×4, first 2 shown]
	v_add_f64 v[94:95], v[182:183], -v[154:155]
	v_add_f64 v[90:91], v[96:97], v[90:91]
	v_add_f64 v[96:97], v[208:209], v[168:169]
	;; [unrolled: 1-line block ×8, first 2 shown]
	v_add_f64 v[126:127], v[126:127], -v[190:191]
	v_add_f64 v[164:165], v[90:91], v[94:95]
	v_add_f64 v[94:95], v[146:147], -v[122:123]
	v_add_f64 v[122:123], v[130:131], -v[240:241]
	v_add_f64 v[126:127], v[34:35], v[126:127]
	v_add_f64 v[114:115], v[134:135], -v[224:225]
	v_add_f64 v[122:123], v[122:123], v[126:127]
	;; [unrolled: 2-line block ×3, first 2 shown]
	v_add_f64 v[96:97], v[96:97], v[114:115]
	v_add_f64 v[114:115], v[186:187], v[118:119]
	;; [unrolled: 1-line block ×8, first 2 shown]
	v_accvgpr_read_b32 v97, a11
	v_accvgpr_read_b32 v96, a10
	v_add_f64 v[92:93], v[96:97], -v[92:93]
	v_accvgpr_read_b32 v97, a9
	v_accvgpr_read_b32 v96, a8
	v_add_f64 v[96:97], v[96:97], -v[158:159]
	v_add_f64 v[96:97], v[34:35], v[96:97]
	v_add_f64 v[34:35], v[34:35], v[38:39]
	;; [unrolled: 1-line block ×15, first 2 shown]
	v_add_f64 v[90:91], v[152:153], -v[192:193]
	v_add_f64 v[88:89], v[88:89], v[128:129]
	v_add_f64 v[26:27], v[26:27], v[44:45]
	;; [unrolled: 1-line block ×8, first 2 shown]
	v_add_f64 v[94:95], v[98:99], -v[232:233]
	v_add_f64 v[92:93], v[92:93], v[96:97]
	v_accvgpr_read_b32 v99, a3
	v_add_f64 v[26:27], v[26:27], v[56:57]
	v_add_f64 v[120:121], v[90:91], v[86:87]
	v_add_f64 v[90:91], v[102:103], -v[222:223]
	v_add_f64 v[92:93], v[94:95], v[92:93]
	v_accvgpr_read_b32 v97, a5
	v_accvgpr_read_b32 v98, a2
	v_add_f64 v[26:27], v[26:27], v[64:65]
	v_add_f64 v[90:91], v[90:91], v[92:93]
	v_accvgpr_read_b32 v93, a7
	v_accvgpr_read_b32 v96, a4
	v_add_f64 v[98:99], v[162:163], v[98:99]
	v_add_f64 v[26:27], v[26:27], v[68:69]
	v_accvgpr_read_b32 v92, a6
	v_add_f64 v[96:97], v[202:203], v[96:97]
	v_add_f64 v[98:99], v[32:33], v[98:99]
	;; [unrolled: 1-line block ×3, first 2 shown]
	v_add_f64 v[88:89], v[106:107], -v[198:199]
	v_add_f64 v[92:93], v[218:219], v[92:93]
	v_add_f64 v[96:97], v[96:97], v[98:99]
	;; [unrolled: 1-line block ×3, first 2 shown]
	v_add_f64 v[86:87], v[116:117], -v[196:197]
	v_add_f64 v[88:89], v[88:89], v[90:91]
	v_add_f64 v[90:91], v[230:231], v[100:101]
	;; [unrolled: 1-line block ×4, first 2 shown]
	v_accvgpr_read_b32 v253, a1
	v_add_f64 v[94:95], v[86:87], v[88:89]
	v_add_f64 v[88:89], v[234:235], v[104:105]
	;; [unrolled: 1-line block ×4, first 2 shown]
	s_movk_i32 s4, 0xc0
	v_accvgpr_read_b32 v252, a0
	v_add_f64 v[86:87], v[200:201], v[108:109]
	v_add_f64 v[88:89], v[88:89], v[90:91]
	;; [unrolled: 1-line block ×3, first 2 shown]
	v_mad_u32_u24 v24, v84, s4, v248
	v_add_f64 v[92:93], v[86:87], v[88:89]
	ds_write_b128 v24, v[20:23]
	ds_write_b128 v24, v[92:95] offset:16
	ds_write_b128 v24, v[120:123] offset:32
	;; [unrolled: 1-line block ×12, first 2 shown]
.LBB0_21:
	s_or_b64 exec, exec, s[28:29]
	s_movk_i32 s4, 0x4f
	v_add_u32_e32 v56, 0xb6, v84
	v_mul_lo_u16_sdwa v59, v84, s4 dst_sel:DWORD dst_unused:UNUSED_PAD src0_sel:BYTE_0 src1_sel:DWORD
	s_movk_i32 s4, 0x4ec5
	v_lshrrev_b16_e32 v58, 10, v59
	v_mul_u32_u24_sdwa v57, v56, s4 dst_sel:DWORD dst_unused:UNUSED_PAD src0_sel:WORD_0 src1_sel:DWORD
	v_mul_lo_u16_e32 v20, 13, v58
	v_lshrrev_b32_e32 v99, 18, v57
	v_sub_u16_e32 v98, v84, v20
	v_mov_b32_e32 v20, 3
	v_mul_lo_u16_e32 v29, 13, v99
	v_mul_u32_u24_sdwa v20, v98, v20 dst_sel:DWORD dst_unused:UNUSED_PAD src0_sel:BYTE_0 src1_sel:DWORD
	v_sub_u16_e32 v100, v56, v29
	v_lshlrev_b32_e32 v28, 4, v20
	v_mul_u32_u24_e32 v32, 3, v100
	s_waitcnt lgkmcnt(0)
	s_barrier
	global_load_dwordx4 v[20:23], v28, s[8:9] offset:16
	global_load_dwordx4 v[24:27], v28, s[8:9]
	v_lshlrev_b32_e32 v44, 4, v32
	global_load_dwordx4 v[28:31], v28, s[8:9] offset:32
	s_nop 0
	global_load_dwordx4 v[32:35], v44, s[8:9]
	global_load_dwordx4 v[36:39], v44, s[8:9] offset:16
	global_load_dwordx4 v[40:43], v44, s[8:9] offset:32
	ds_read_b128 v[44:47], v248
	ds_read_b128 v[48:51], v248 offset:2912
	ds_read_b128 v[52:55], v248 offset:5824
	;; [unrolled: 1-line block ×7, first 2 shown]
	v_mul_u32_u24_e32 v101, 0x340, v58
	v_mov_b32_e32 v58, 4
	s_waitcnt lgkmcnt(0)
	s_barrier
	v_cmp_gt_u32_e32 vcc, 26, v84
	s_waitcnt vmcnt(5)
	v_mul_f64 v[88:89], v[66:67], v[22:23]
	s_waitcnt vmcnt(4)
	v_mul_f64 v[86:87], v[54:55], v[26:27]
	v_mul_f64 v[26:27], v[52:53], v[26:27]
	;; [unrolled: 1-line block ×3, first 2 shown]
	s_waitcnt vmcnt(3)
	v_mul_f64 v[90:91], v[74:75], v[30:31]
	v_mul_f64 v[30:31], v[72:73], v[30:31]
	s_waitcnt vmcnt(2)
	v_mul_f64 v[92:93], v[62:63], v[34:35]
	v_mul_f64 v[34:35], v[60:61], v[34:35]
	s_waitcnt vmcnt(1)
	v_mul_f64 v[94:95], v[70:71], v[38:39]
	s_waitcnt vmcnt(0)
	v_mul_f64 v[96:97], v[78:79], v[42:43]
	v_mul_f64 v[42:43], v[76:77], v[42:43]
	v_fmac_f64_e32 v[86:87], v[52:53], v[24:25]
	v_fma_f64 v[24:25], v[54:55], v[24:25], -v[26:27]
	v_fmac_f64_e32 v[88:89], v[64:65], v[20:21]
	v_fma_f64 v[20:21], v[66:67], v[20:21], -v[22:23]
	;; [unrolled: 2-line block ×3, first 2 shown]
	v_mul_f64 v[38:39], v[68:69], v[38:39]
	v_fmac_f64_e32 v[92:93], v[60:61], v[32:33]
	v_fma_f64 v[28:29], v[62:63], v[32:33], -v[34:35]
	v_fmac_f64_e32 v[94:95], v[68:69], v[36:37]
	v_fma_f64 v[30:31], v[78:79], v[40:41], -v[42:43]
	v_add_f64 v[32:33], v[44:45], -v[88:89]
	v_add_f64 v[34:35], v[46:47], -v[20:21]
	;; [unrolled: 1-line block ×4, first 2 shown]
	v_fma_f64 v[26:27], v[70:71], v[36:37], -v[38:39]
	v_fmac_f64_e32 v[96:97], v[76:77], v[40:41]
	v_add_f64 v[40:41], v[48:49], -v[94:95]
	v_add_f64 v[30:31], v[28:29], -v[30:31]
	v_fma_f64 v[44:45], v[44:45], 2.0, -v[32:33]
	v_fma_f64 v[46:47], v[46:47], 2.0, -v[34:35]
	;; [unrolled: 1-line block ×4, first 2 shown]
	v_add_f64 v[42:43], v[50:51], -v[26:27]
	v_add_f64 v[36:37], v[92:93], -v[96:97]
	;; [unrolled: 1-line block ×3, first 2 shown]
	v_fma_f64 v[60:61], v[28:29], 2.0, -v[30:31]
	v_add_f64 v[20:21], v[40:41], v[30:31]
	v_add_f64 v[28:29], v[44:45], -v[38:39]
	v_add_f64 v[30:31], v[46:47], -v[52:53]
	v_lshlrev_b32_sdwa v52, v58, v98 dst_sel:DWORD dst_unused:UNUSED_PAD src0_sel:DWORD src1_sel:BYTE_0
	v_add_f64 v[24:25], v[32:33], v[22:23]
	v_fma_f64 v[48:49], v[48:49], 2.0, -v[40:41]
	v_fma_f64 v[50:51], v[50:51], 2.0, -v[42:43]
	;; [unrolled: 1-line block ×5, first 2 shown]
	v_add3_u32 v52, 0, v101, v52
	v_add_f64 v[22:23], v[42:43], -v[36:37]
	v_fma_f64 v[32:33], v[32:33], 2.0, -v[24:25]
	v_fma_f64 v[34:35], v[34:35], 2.0, -v[26:27]
	v_add_f64 v[36:37], v[48:49], -v[54:55]
	v_add_f64 v[38:39], v[50:51], -v[60:61]
	ds_write_b128 v52, v[44:47]
	ds_write_b128 v52, v[32:35] offset:208
	ds_write_b128 v52, v[28:31] offset:416
	;; [unrolled: 1-line block ×3, first 2 shown]
	v_mul_u32_u24_e32 v24, 0x340, v99
	v_lshlrev_b32_e32 v25, 4, v100
	v_fma_f64 v[40:41], v[40:41], 2.0, -v[20:21]
	v_fma_f64 v[42:43], v[42:43], 2.0, -v[22:23]
	;; [unrolled: 1-line block ×4, first 2 shown]
	v_add3_u32 v24, 0, v24, v25
	ds_write_b128 v24, v[48:51]
	ds_write_b128 v24, v[40:43] offset:208
	ds_write_b128 v24, v[36:39] offset:416
	;; [unrolled: 1-line block ×3, first 2 shown]
	s_waitcnt lgkmcnt(0)
	s_barrier
	ds_read_b128 v[28:31], v248
	ds_read_b128 v[52:55], v248 offset:3328
	ds_read_b128 v[48:51], v248 offset:6656
	ds_read_b128 v[44:47], v248 offset:9984
	ds_read_b128 v[40:43], v248 offset:13312
	ds_read_b128 v[36:39], v248 offset:16640
	ds_read_b128 v[32:35], v248 offset:19968
                                        ; implicit-def: $vgpr26_vgpr27
	s_and_saveexec_b64 s[4:5], vcc
	s_cbranch_execz .LBB0_23
; %bb.22:
	ds_read_b128 v[20:23], v248 offset:2912
	ds_read_b128 v[16:19], v248 offset:6240
	;; [unrolled: 1-line block ×7, first 2 shown]
.LBB0_23:
	s_or_b64 exec, exec, s[4:5]
	v_lshrrev_b16_e32 v59, 12, v59
	v_mul_lo_u16_e32 v60, 52, v59
	v_sub_u16_e32 v102, v84, v60
	v_mov_b32_e32 v60, 6
	v_mul_u32_u24_sdwa v60, v102, v60 dst_sel:DWORD dst_unused:UNUSED_PAD src0_sel:BYTE_0 src1_sel:DWORD
	v_lshlrev_b32_e32 v86, 4, v60
	global_load_dwordx4 v[60:63], v86, s[8:9] offset:624
	global_load_dwordx4 v[64:67], v86, s[8:9] offset:640
	;; [unrolled: 1-line block ×6, first 2 shown]
	s_mov_b32 s10, 0x37e14327
	s_mov_b32 s12, 0x36b3c0b5
	;; [unrolled: 1-line block ×20, first 2 shown]
	v_mul_u32_u24_e32 v59, 0x16c0, v59
	v_lshlrev_b32_sdwa v58, v58, v102 dst_sel:DWORD dst_unused:UNUSED_PAD src0_sel:DWORD src1_sel:BYTE_0
	v_add3_u32 v58, 0, v59, v58
	s_waitcnt lgkmcnt(0)
	s_barrier
	s_waitcnt vmcnt(5)
	v_mul_f64 v[86:87], v[54:55], v[62:63]
	v_mul_f64 v[62:63], v[52:53], v[62:63]
	s_waitcnt vmcnt(4)
	v_mul_f64 v[92:93], v[50:51], v[66:67]
	v_mul_f64 v[66:67], v[48:49], v[66:67]
	;; [unrolled: 3-line block ×4, first 2 shown]
	v_mul_f64 v[94:95], v[46:47], v[70:71]
	v_mul_f64 v[70:71], v[44:45], v[70:71]
	v_mul_f64 v[96:97], v[42:43], v[74:75]
	v_mul_f64 v[74:75], v[40:41], v[74:75]
	v_fmac_f64_e32 v[86:87], v[52:53], v[60:61]
	v_fma_f64 v[52:53], v[54:55], v[60:61], -v[62:63]
	v_fmac_f64_e32 v[92:93], v[48:49], v[64:65]
	v_fma_f64 v[48:49], v[50:51], v[64:65], -v[66:67]
	;; [unrolled: 2-line block ×6, first 2 shown]
	v_add_f64 v[34:35], v[86:87], v[100:101]
	v_add_f64 v[38:39], v[52:53], v[32:33]
	;; [unrolled: 1-line block ×4, first 2 shown]
	v_add_f64 v[36:37], v[48:49], -v[36:37]
	v_add_f64 v[48:49], v[94:95], v[96:97]
	v_add_f64 v[54:55], v[44:45], v[40:41]
	v_add_f64 v[40:41], v[40:41], -v[44:45]
	v_add_f64 v[44:45], v[46:47], v[34:35]
	v_add_f64 v[62:63], v[50:51], v[38:39]
	v_add_f64 v[42:43], v[86:87], -v[100:101]
	v_add_f64 v[32:33], v[52:53], -v[32:33]
	;; [unrolled: 1-line block ×7, first 2 shown]
	v_add_f64 v[44:45], v[48:49], v[44:45]
	v_add_f64 v[48:49], v[54:55], v[62:63]
	v_add_f64 v[66:67], v[50:51], -v[38:39]
	v_add_f64 v[38:39], v[38:39], -v[54:55]
	;; [unrolled: 1-line block ×3, first 2 shown]
	v_add_f64 v[68:69], v[60:61], v[52:53]
	v_add_f64 v[70:71], v[40:41], v[36:37]
	v_add_f64 v[72:73], v[60:61], -v[52:53]
	v_add_f64 v[74:75], v[40:41], -v[36:37]
	;; [unrolled: 1-line block ×4, first 2 shown]
	v_add_f64 v[28:29], v[28:29], v[44:45]
	v_add_f64 v[30:31], v[30:31], v[48:49]
	v_add_f64 v[60:61], v[42:43], -v[60:61]
	v_add_f64 v[40:41], v[32:33], -v[40:41]
	v_add_f64 v[42:43], v[68:69], v[42:43]
	v_add_f64 v[32:33], v[70:71], v[32:33]
	v_mul_f64 v[34:35], v[34:35], s[10:11]
	v_mul_f64 v[38:39], v[38:39], s[10:11]
	;; [unrolled: 1-line block ×8, first 2 shown]
	v_mov_b64_e32 v[76:77], v[28:29]
	v_mov_b64_e32 v[78:79], v[30:31]
	v_fmac_f64_e32 v[76:77], s[14:15], v[44:45]
	v_fmac_f64_e32 v[78:79], s[14:15], v[48:49]
	v_fma_f64 v[44:45], v[64:65], s[18:19], -v[54:55]
	v_fma_f64 v[48:49], v[66:67], s[18:19], -v[62:63]
	;; [unrolled: 1-line block ×3, first 2 shown]
	v_fmac_f64_e32 v[34:35], s[12:13], v[46:47]
	v_fma_f64 v[46:47], v[66:67], s[22:23], -v[38:39]
	v_fmac_f64_e32 v[38:39], s[12:13], v[50:51]
	v_fma_f64 v[50:51], v[52:53], s[4:5], -v[68:69]
	;; [unrolled: 2-line block ×4, first 2 shown]
	v_fma_f64 v[62:63], v[40:41], s[24:25], -v[74:75]
	v_add_f64 v[64:65], v[34:35], v[76:77]
	v_add_f64 v[66:67], v[38:39], v[78:79]
	;; [unrolled: 1-line block ×6, first 2 shown]
	v_fmac_f64_e32 v[68:69], s[20:21], v[42:43]
	v_fmac_f64_e32 v[70:71], s[20:21], v[32:33]
	;; [unrolled: 1-line block ×6, first 2 shown]
	v_add_f64 v[32:33], v[70:71], v[64:65]
	v_add_f64 v[34:35], v[66:67], -v[68:69]
	v_add_f64 v[36:37], v[62:63], v[54:55]
	v_add_f64 v[38:39], v[72:73], -v[60:61]
	v_add_f64 v[40:41], v[44:45], -v[52:53]
	v_add_f64 v[42:43], v[50:51], v[48:49]
	v_add_f64 v[44:45], v[52:53], v[44:45]
	v_add_f64 v[46:47], v[48:49], -v[50:51]
	v_add_f64 v[48:49], v[54:55], -v[62:63]
	v_add_f64 v[50:51], v[60:61], v[72:73]
	v_add_f64 v[52:53], v[64:65], -v[70:71]
	v_add_f64 v[54:55], v[68:69], v[66:67]
	ds_write_b128 v58, v[28:31]
	ds_write_b128 v58, v[32:35] offset:832
	ds_write_b128 v58, v[36:39] offset:1664
	;; [unrolled: 1-line block ×6, first 2 shown]
	s_and_saveexec_b64 s[28:29], vcc
	s_cbranch_execz .LBB0_25
; %bb.24:
	v_lshrrev_b32_e32 v28, 20, v57
	v_mul_lo_u16_e32 v28, 52, v28
	v_sub_u16_e32 v64, v56, v28
	v_mul_u32_u24_e32 v28, 6, v64
	v_lshlrev_b32_e32 v52, 4, v28
	global_load_dwordx4 v[28:31], v52, s[8:9] offset:672
	global_load_dwordx4 v[32:35], v52, s[8:9] offset:656
	;; [unrolled: 1-line block ×6, first 2 shown]
	s_waitcnt vmcnt(5)
	v_mul_f64 v[52:53], v[6:7], v[30:31]
	s_waitcnt vmcnt(4)
	v_mul_f64 v[54:55], v[10:11], v[34:35]
	;; [unrolled: 2-line block ×6, first 2 shown]
	v_mul_f64 v[34:35], v[8:9], v[34:35]
	v_mul_f64 v[30:31], v[4:5], v[30:31]
	;; [unrolled: 1-line block ×6, first 2 shown]
	v_fmac_f64_e32 v[52:53], v[4:5], v[28:29]
	v_fmac_f64_e32 v[54:55], v[8:9], v[32:33]
	;; [unrolled: 1-line block ×6, first 2 shown]
	v_fma_f64 v[0:1], v[10:11], v[32:33], -v[34:35]
	v_fma_f64 v[4:5], v[6:7], v[28:29], -v[30:31]
	;; [unrolled: 1-line block ×6, first 2 shown]
	v_add_f64 v[12:13], v[52:53], -v[54:55]
	v_add_f64 v[14:15], v[56:57], -v[58:59]
	;; [unrolled: 1-line block ×3, first 2 shown]
	v_add_f64 v[18:19], v[0:1], v[4:5]
	v_add_f64 v[24:25], v[6:7], v[2:3]
	;; [unrolled: 1-line block ×6, first 2 shown]
	v_add_f64 v[0:1], v[4:5], -v[0:1]
	v_add_f64 v[34:35], v[6:7], -v[2:3]
	v_add_f64 v[2:3], v[12:13], v[14:15]
	v_add_f64 v[4:5], v[12:13], -v[14:15]
	v_add_f64 v[6:7], v[16:17], -v[12:13]
	;; [unrolled: 1-line block ×3, first 2 shown]
	v_add_f64 v[36:37], v[24:25], v[26:27]
	v_add_f64 v[8:9], v[8:9], -v[10:11]
	v_add_f64 v[10:11], v[18:19], -v[24:25]
	;; [unrolled: 1-line block ×4, first 2 shown]
	v_add_f64 v[42:43], v[30:31], v[32:33]
	v_add_f64 v[44:45], v[0:1], v[34:35]
	v_add_f64 v[14:15], v[14:15], -v[16:17]
	v_add_f64 v[24:25], v[24:25], -v[26:27]
	;; [unrolled: 1-line block ×3, first 2 shown]
	v_mul_f64 v[30:31], v[4:5], s[16:17]
	v_mul_f64 v[4:5], v[12:13], s[10:11]
	v_add_f64 v[12:13], v[18:19], v[36:37]
	v_add_f64 v[16:17], v[2:3], v[16:17]
	v_mul_f64 v[36:37], v[40:41], s[10:11]
	v_add_f64 v[28:29], v[28:29], v[42:43]
	v_add_f64 v[40:41], v[44:45], v[8:9]
	v_mul_f64 v[44:45], v[14:15], s[4:5]
	v_add_f64 v[2:3], v[22:23], v[12:13]
	v_add_f64 v[46:47], v[0:1], -v[34:35]
	v_add_f64 v[48:49], v[8:9], -v[0:1]
	v_add_f64 v[0:1], v[20:21], v[28:29]
	v_fma_f64 v[20:21], v[6:7], s[24:25], -v[44:45]
	v_mov_b64_e32 v[44:45], v[2:3]
	v_mul_f64 v[18:19], v[38:39], s[12:13]
	v_mul_f64 v[42:43], v[46:47], s[16:17]
	v_fma_f64 v[46:47], s[26:27], v[6:7], v[30:31]
	v_mov_b64_e32 v[50:51], v[0:1]
	v_fmac_f64_e32 v[44:45], s[14:15], v[12:13]
	v_add_f64 v[12:13], v[34:35], -v[8:9]
	v_fma_f64 v[30:31], v[14:15], s[4:5], -v[30:31]
	v_mul_f64 v[32:33], v[10:11], s[12:13]
	v_fma_f64 v[10:11], s[12:13], v[10:11], v[4:5]
	v_fmac_f64_e32 v[46:47], s[20:21], v[16:17]
	v_fmac_f64_e32 v[20:21], s[20:21], v[16:17]
	;; [unrolled: 1-line block ×3, first 2 shown]
	v_mul_f64 v[8:9], v[12:13], s[4:5]
	v_fmac_f64_e32 v[30:31], s[20:21], v[16:17]
	v_fma_f64 v[16:17], v[12:13], s[4:5], -v[42:43]
	v_fma_f64 v[12:13], v[26:27], s[18:19], -v[18:19]
	v_fma_f64 v[22:23], s[12:13], v[38:39], v[36:37]
	v_fma_f64 v[38:39], s[26:27], v[48:49], v[42:43]
	v_fma_f64 v[4:5], v[24:25], s[22:23], -v[4:5]
	v_fma_f64 v[36:37], v[26:27], s[22:23], -v[36:37]
	v_add_f64 v[28:29], v[10:11], v[44:45]
	v_fma_f64 v[34:35], v[48:49], s[24:25], -v[8:9]
	v_fma_f64 v[24:25], v[24:25], s[18:19], -v[32:33]
	v_fmac_f64_e32 v[16:17], s[20:21], v[40:41]
	v_add_f64 v[26:27], v[12:13], v[50:51]
	v_fmac_f64_e32 v[38:39], s[20:21], v[40:41]
	v_add_f64 v[52:53], v[22:23], v[50:51]
	v_add_f64 v[22:23], v[4:5], v[44:45]
	;; [unrolled: 1-line block ×4, first 2 shown]
	v_fmac_f64_e32 v[34:35], s[20:21], v[40:41]
	v_add_f64 v[24:25], v[24:25], v[44:45]
	v_add_f64 v[12:13], v[16:17], v[26:27]
	v_add_f64 v[16:17], v[26:27], -v[16:17]
	v_add_f64 v[26:27], v[28:29], -v[46:47]
	v_lshl_add_u32 v28, v64, 4, 0
	v_add_f64 v[4:5], v[52:53], -v[38:39]
	v_add_f64 v[10:11], v[20:21], v[22:23]
	v_add_f64 v[8:9], v[36:37], -v[34:35]
	v_add_f64 v[14:15], v[24:25], -v[30:31]
	v_add_f64 v[18:19], v[30:31], v[24:25]
	v_add_f64 v[22:23], v[22:23], -v[20:21]
	v_add_f64 v[20:21], v[34:35], v[36:37]
	v_add_f64 v[24:25], v[38:39], v[52:53]
	ds_write_b128 v28, v[0:3] offset:17472
	ds_write_b128 v28, v[24:27] offset:18304
	;; [unrolled: 1-line block ×7, first 2 shown]
.LBB0_25:
	s_or_b64 exec, exec, s[28:29]
	v_lshl_add_u64 v[26:27], v[252:253], 4, s[8:9]
	s_movk_i32 s4, 0x1000
	v_add_co_u32_e32 v0, vcc, s4, v26
	v_lshl_add_u64 v[24:25], v[84:85], 4, s[8:9]
	s_nop 0
	v_addc_co_u32_e32 v1, vcc, 0, v27, vcc
	s_movk_i32 s4, 0x2000
	v_add_co_u32_e32 v4, vcc, s4, v24
	s_waitcnt lgkmcnt(0)
	s_barrier
	global_load_dwordx4 v[0:3], v[0:1], off offset:1520
	v_addc_co_u32_e32 v5, vcc, 0, v25, vcc
	global_load_dwordx4 v[20:23], v[4:5], off offset:336
	ds_read_b128 v[12:15], v248
	ds_read_b128 v[4:7], v248 offset:2912
	ds_read_b128 v[28:31], v248 offset:11648
	;; [unrolled: 1-line block ×7, first 2 shown]
	v_add_co_u32_e32 v44, vcc, s4, v26
	s_movk_i32 s5, 0x3000
	s_nop 0
	v_addc_co_u32_e32 v45, vcc, 0, v27, vcc
	v_add_co_u32_e32 v46, vcc, s5, v24
	s_movk_i32 s8, 0x4000
	s_nop 0
	v_addc_co_u32_e32 v47, vcc, 0, v25, vcc
	s_waitcnt lgkmcnt(0)
	s_barrier
	s_waitcnt vmcnt(1)
	v_mul_f64 v[26:27], v[30:31], v[2:3]
	v_mul_f64 v[54:55], v[38:39], v[2:3]
	;; [unrolled: 1-line block ×3, first 2 shown]
	s_waitcnt vmcnt(0)
	v_mul_f64 v[50:51], v[34:35], v[22:23]
	v_mul_f64 v[52:53], v[32:33], v[22:23]
	;; [unrolled: 1-line block ×5, first 2 shown]
	v_fmac_f64_e32 v[26:27], v[28:29], v[0:1]
	v_fmac_f64_e32 v[54:55], v[36:37], v[0:1]
	v_fma_f64 v[28:29], v[30:31], v[0:1], -v[48:49]
	v_fmac_f64_e32 v[50:51], v[32:33], v[20:21]
	v_fma_f64 v[30:31], v[34:35], v[20:21], -v[52:53]
	v_fma_f64 v[32:33], v[38:39], v[0:1], -v[2:3]
	v_fmac_f64_e32 v[56:57], v[40:41], v[20:21]
	v_fma_f64 v[34:35], v[42:43], v[20:21], -v[22:23]
	v_add_f64 v[0:1], v[12:13], -v[26:27]
	v_add_f64 v[26:27], v[16:17], -v[54:55]
	;; [unrolled: 1-line block ×8, first 2 shown]
	v_fma_f64 v[16:17], v[16:17], 2.0, -v[26:27]
	v_fma_f64 v[12:13], v[12:13], 2.0, -v[0:1]
	;; [unrolled: 1-line block ×8, first 2 shown]
	ds_write_b128 v248, v[0:3] offset:5824
	ds_write_b128 v248, v[20:23] offset:8736
	;; [unrolled: 1-line block ×4, first 2 shown]
	ds_write_b128 v248, v[12:15]
	ds_write_b128 v248, v[4:7] offset:2912
	ds_write_b128 v248, v[16:19] offset:11648
	;; [unrolled: 1-line block ×3, first 2 shown]
	v_add_co_u32_e32 v16, vcc, s8, v24
	s_waitcnt lgkmcnt(0)
	s_nop 0
	v_addc_co_u32_e32 v17, vcc, 0, v25, vcc
	s_barrier
	global_load_dwordx4 v[0:3], v[44:45], off offset:3248
	global_load_dwordx4 v[4:7], v[46:47], off offset:2064
	;; [unrolled: 1-line block ×4, first 2 shown]
	ds_read_b128 v[16:19], v248
	ds_read_b128 v[20:23], v248 offset:2912
	ds_read_b128 v[24:27], v248 offset:11648
	ds_read_b128 v[28:31], v248 offset:14560
	ds_read_b128 v[32:35], v248 offset:5824
	ds_read_b128 v[36:39], v248 offset:8736
	ds_read_b128 v[40:43], v248 offset:17472
	ds_read_b128 v[44:47], v248 offset:20384
	s_waitcnt lgkmcnt(0)
	s_barrier
	s_waitcnt vmcnt(3)
	v_mul_f64 v[48:49], v[26:27], v[2:3]
	v_mul_f64 v[2:3], v[24:25], v[2:3]
	s_waitcnt vmcnt(2)
	v_mul_f64 v[50:51], v[30:31], v[6:7]
	v_mul_f64 v[6:7], v[28:29], v[6:7]
	;; [unrolled: 3-line block ×4, first 2 shown]
	v_fmac_f64_e32 v[48:49], v[24:25], v[0:1]
	v_fma_f64 v[2:3], v[26:27], v[0:1], -v[2:3]
	v_fmac_f64_e32 v[50:51], v[28:29], v[4:5]
	v_fma_f64 v[6:7], v[30:31], v[4:5], -v[6:7]
	;; [unrolled: 2-line block ×4, first 2 shown]
	v_add_f64 v[0:1], v[16:17], -v[48:49]
	v_add_f64 v[2:3], v[18:19], -v[2:3]
	;; [unrolled: 1-line block ×8, first 2 shown]
	v_fma_f64 v[16:17], v[16:17], 2.0, -v[0:1]
	v_fma_f64 v[18:19], v[18:19], 2.0, -v[2:3]
	;; [unrolled: 1-line block ×8, first 2 shown]
	ds_write_b128 v248, v[0:3] offset:11648
	ds_write_b128 v248, v[4:7] offset:14560
	;; [unrolled: 1-line block ×4, first 2 shown]
	ds_write_b128 v248, v[16:19]
	ds_write_b128 v248, v[20:23] offset:2912
	ds_write_b128 v248, v[24:27] offset:5824
	;; [unrolled: 1-line block ×3, first 2 shown]
	s_waitcnt lgkmcnt(0)
	s_barrier
	s_and_saveexec_b64 s[4:5], s[0:1]
	s_cbranch_execz .LBB0_27
; %bb.26:
	v_mul_lo_u32 v0, s3, v82
	v_mul_lo_u32 v1, s2, v83
	v_mad_u64_u32 v[4:5], s[0:1], s2, v82, 0
	v_lshl_add_u32 v12, v84, 4, 0
	v_add3_u32 v5, v5, v1, v0
	ds_read_b128 v[0:3], v12
	v_lshl_add_u64 v[4:5], v[4:5], 4, s[6:7]
	v_lshl_add_u64 v[8:9], v[80:81], 4, v[4:5]
	ds_read_b128 v[4:7], v12 offset:2912
	v_mov_b32_e32 v85, 0
	v_lshl_add_u64 v[10:11], v[84:85], 4, v[8:9]
	s_waitcnt lgkmcnt(1)
	global_store_dwordx4 v[10:11], v[0:3], off
	s_nop 1
	v_add_u32_e32 v0, 0xb6, v84
	v_mov_b32_e32 v1, v85
	v_lshl_add_u64 v[0:1], v[0:1], 4, v[8:9]
	s_waitcnt lgkmcnt(0)
	global_store_dwordx4 v[0:1], v[4:7], off
	ds_read_b128 v[0:3], v12 offset:5824
	s_nop 0
	v_add_u32_e32 v4, 0x16c, v84
	v_mov_b32_e32 v5, v85
	v_lshl_add_u64 v[10:11], v[4:5], 4, v[8:9]
	ds_read_b128 v[4:7], v12 offset:8736
	s_waitcnt lgkmcnt(1)
	global_store_dwordx4 v[10:11], v[0:3], off
	s_nop 1
	v_add_u32_e32 v0, 0x222, v84
	v_mov_b32_e32 v1, v85
	v_lshl_add_u64 v[0:1], v[0:1], 4, v[8:9]
	s_waitcnt lgkmcnt(0)
	global_store_dwordx4 v[0:1], v[4:7], off
	ds_read_b128 v[0:3], v12 offset:11648
	s_nop 0
	v_add_u32_e32 v4, 0x2d8, v84
	v_mov_b32_e32 v5, v85
	v_lshl_add_u64 v[10:11], v[4:5], 4, v[8:9]
	ds_read_b128 v[4:7], v12 offset:14560
	s_waitcnt lgkmcnt(1)
	global_store_dwordx4 v[10:11], v[0:3], off
	v_add_u32_e32 v10, 0x444, v84
	v_mov_b32_e32 v11, v85
	v_add_u32_e32 v0, 0x38e, v84
	v_mov_b32_e32 v1, v85
	v_lshl_add_u64 v[0:1], v[0:1], 4, v[8:9]
	s_waitcnt lgkmcnt(0)
	global_store_dwordx4 v[0:1], v[4:7], off
	ds_read_b128 v[0:3], v12 offset:17472
	ds_read_b128 v[4:7], v12 offset:20384
	v_lshl_add_u64 v[10:11], v[10:11], 4, v[8:9]
	v_add_u32_e32 v84, 0x4fa, v84
	s_waitcnt lgkmcnt(1)
	global_store_dwordx4 v[10:11], v[0:3], off
	s_nop 1
	v_lshl_add_u64 v[0:1], v[84:85], 4, v[8:9]
	s_waitcnt lgkmcnt(0)
	global_store_dwordx4 v[0:1], v[4:7], off
.LBB0_27:
	s_endpgm
	.section	.rodata,"a",@progbits
	.p2align	6, 0x0
	.amdhsa_kernel fft_rtc_back_len1456_factors_13_4_7_2_2_wgs_182_tpt_182_halfLds_dp_op_CI_CI_unitstride_sbrr_C2R_dirReg
		.amdhsa_group_segment_fixed_size 0
		.amdhsa_private_segment_fixed_size 0
		.amdhsa_kernarg_size 104
		.amdhsa_user_sgpr_count 2
		.amdhsa_user_sgpr_dispatch_ptr 0
		.amdhsa_user_sgpr_queue_ptr 0
		.amdhsa_user_sgpr_kernarg_segment_ptr 1
		.amdhsa_user_sgpr_dispatch_id 0
		.amdhsa_user_sgpr_kernarg_preload_length 0
		.amdhsa_user_sgpr_kernarg_preload_offset 0
		.amdhsa_user_sgpr_private_segment_size 0
		.amdhsa_uses_dynamic_stack 0
		.amdhsa_enable_private_segment 0
		.amdhsa_system_sgpr_workgroup_id_x 1
		.amdhsa_system_sgpr_workgroup_id_y 0
		.amdhsa_system_sgpr_workgroup_id_z 0
		.amdhsa_system_sgpr_workgroup_info 0
		.amdhsa_system_vgpr_workitem_id 0
		.amdhsa_next_free_vgpr 268
		.amdhsa_next_free_sgpr 48
		.amdhsa_accum_offset 256
		.amdhsa_reserve_vcc 1
		.amdhsa_float_round_mode_32 0
		.amdhsa_float_round_mode_16_64 0
		.amdhsa_float_denorm_mode_32 3
		.amdhsa_float_denorm_mode_16_64 3
		.amdhsa_dx10_clamp 1
		.amdhsa_ieee_mode 1
		.amdhsa_fp16_overflow 0
		.amdhsa_tg_split 0
		.amdhsa_exception_fp_ieee_invalid_op 0
		.amdhsa_exception_fp_denorm_src 0
		.amdhsa_exception_fp_ieee_div_zero 0
		.amdhsa_exception_fp_ieee_overflow 0
		.amdhsa_exception_fp_ieee_underflow 0
		.amdhsa_exception_fp_ieee_inexact 0
		.amdhsa_exception_int_div_zero 0
	.end_amdhsa_kernel
	.text
.Lfunc_end0:
	.size	fft_rtc_back_len1456_factors_13_4_7_2_2_wgs_182_tpt_182_halfLds_dp_op_CI_CI_unitstride_sbrr_C2R_dirReg, .Lfunc_end0-fft_rtc_back_len1456_factors_13_4_7_2_2_wgs_182_tpt_182_halfLds_dp_op_CI_CI_unitstride_sbrr_C2R_dirReg
                                        ; -- End function
	.section	.AMDGPU.csdata,"",@progbits
; Kernel info:
; codeLenInByte = 11136
; NumSgprs: 54
; NumVgprs: 256
; NumAgprs: 12
; TotalNumVgprs: 268
; ScratchSize: 0
; MemoryBound: 0
; FloatMode: 240
; IeeeMode: 1
; LDSByteSize: 0 bytes/workgroup (compile time only)
; SGPRBlocks: 6
; VGPRBlocks: 33
; NumSGPRsForWavesPerEU: 54
; NumVGPRsForWavesPerEU: 268
; AccumOffset: 256
; Occupancy: 1
; WaveLimiterHint : 1
; COMPUTE_PGM_RSRC2:SCRATCH_EN: 0
; COMPUTE_PGM_RSRC2:USER_SGPR: 2
; COMPUTE_PGM_RSRC2:TRAP_HANDLER: 0
; COMPUTE_PGM_RSRC2:TGID_X_EN: 1
; COMPUTE_PGM_RSRC2:TGID_Y_EN: 0
; COMPUTE_PGM_RSRC2:TGID_Z_EN: 0
; COMPUTE_PGM_RSRC2:TIDIG_COMP_CNT: 0
; COMPUTE_PGM_RSRC3_GFX90A:ACCUM_OFFSET: 63
; COMPUTE_PGM_RSRC3_GFX90A:TG_SPLIT: 0
	.text
	.p2alignl 6, 3212836864
	.fill 256, 4, 3212836864
	.type	__hip_cuid_87f490467d9e0b23,@object ; @__hip_cuid_87f490467d9e0b23
	.section	.bss,"aw",@nobits
	.globl	__hip_cuid_87f490467d9e0b23
__hip_cuid_87f490467d9e0b23:
	.byte	0                               ; 0x0
	.size	__hip_cuid_87f490467d9e0b23, 1

	.ident	"AMD clang version 19.0.0git (https://github.com/RadeonOpenCompute/llvm-project roc-6.4.0 25133 c7fe45cf4b819c5991fe208aaa96edf142730f1d)"
	.section	".note.GNU-stack","",@progbits
	.addrsig
	.addrsig_sym __hip_cuid_87f490467d9e0b23
	.amdgpu_metadata
---
amdhsa.kernels:
  - .agpr_count:     12
    .args:
      - .actual_access:  read_only
        .address_space:  global
        .offset:         0
        .size:           8
        .value_kind:     global_buffer
      - .offset:         8
        .size:           8
        .value_kind:     by_value
      - .actual_access:  read_only
        .address_space:  global
        .offset:         16
        .size:           8
        .value_kind:     global_buffer
      - .actual_access:  read_only
        .address_space:  global
        .offset:         24
        .size:           8
        .value_kind:     global_buffer
      - .actual_access:  read_only
        .address_space:  global
        .offset:         32
        .size:           8
        .value_kind:     global_buffer
      - .offset:         40
        .size:           8
        .value_kind:     by_value
      - .actual_access:  read_only
        .address_space:  global
        .offset:         48
        .size:           8
        .value_kind:     global_buffer
      - .actual_access:  read_only
        .address_space:  global
        .offset:         56
        .size:           8
        .value_kind:     global_buffer
      - .offset:         64
        .size:           4
        .value_kind:     by_value
      - .actual_access:  read_only
        .address_space:  global
        .offset:         72
        .size:           8
        .value_kind:     global_buffer
      - .actual_access:  read_only
        .address_space:  global
        .offset:         80
        .size:           8
        .value_kind:     global_buffer
      - .actual_access:  read_only
        .address_space:  global
        .offset:         88
        .size:           8
        .value_kind:     global_buffer
      - .actual_access:  write_only
        .address_space:  global
        .offset:         96
        .size:           8
        .value_kind:     global_buffer
    .group_segment_fixed_size: 0
    .kernarg_segment_align: 8
    .kernarg_segment_size: 104
    .language:       OpenCL C
    .language_version:
      - 2
      - 0
    .max_flat_workgroup_size: 182
    .name:           fft_rtc_back_len1456_factors_13_4_7_2_2_wgs_182_tpt_182_halfLds_dp_op_CI_CI_unitstride_sbrr_C2R_dirReg
    .private_segment_fixed_size: 0
    .sgpr_count:     54
    .sgpr_spill_count: 0
    .symbol:         fft_rtc_back_len1456_factors_13_4_7_2_2_wgs_182_tpt_182_halfLds_dp_op_CI_CI_unitstride_sbrr_C2R_dirReg.kd
    .uniform_work_group_size: 1
    .uses_dynamic_stack: false
    .vgpr_count:     268
    .vgpr_spill_count: 0
    .wavefront_size: 64
amdhsa.target:   amdgcn-amd-amdhsa--gfx950
amdhsa.version:
  - 1
  - 2
...

	.end_amdgpu_metadata
